;; amdgpu-corpus repo=ROCm/rocFFT kind=compiled arch=gfx906 opt=O3
	.text
	.amdgcn_target "amdgcn-amd-amdhsa--gfx906"
	.amdhsa_code_object_version 6
	.protected	fft_rtc_back_len1760_factors_2_2_2_2_2_11_5_wgs_176_tpt_176_halfLds_half_op_CI_CI_sbrr_dirReg ; -- Begin function fft_rtc_back_len1760_factors_2_2_2_2_2_11_5_wgs_176_tpt_176_halfLds_half_op_CI_CI_sbrr_dirReg
	.globl	fft_rtc_back_len1760_factors_2_2_2_2_2_11_5_wgs_176_tpt_176_halfLds_half_op_CI_CI_sbrr_dirReg
	.p2align	8
	.type	fft_rtc_back_len1760_factors_2_2_2_2_2_11_5_wgs_176_tpt_176_halfLds_half_op_CI_CI_sbrr_dirReg,@function
fft_rtc_back_len1760_factors_2_2_2_2_2_11_5_wgs_176_tpt_176_halfLds_half_op_CI_CI_sbrr_dirReg: ; @fft_rtc_back_len1760_factors_2_2_2_2_2_11_5_wgs_176_tpt_176_halfLds_half_op_CI_CI_sbrr_dirReg
; %bb.0:
	s_load_dwordx4 s[16:19], s[4:5], 0x18
	s_load_dwordx4 s[12:15], s[4:5], 0x0
	;; [unrolled: 1-line block ×3, first 2 shown]
	v_mul_u32_u24_e32 v1, 0x175, v0
	v_mov_b32_e32 v7, 0
	s_waitcnt lgkmcnt(0)
	s_load_dwordx2 s[20:21], s[16:17], 0x0
	s_load_dwordx2 s[2:3], s[18:19], 0x0
	v_cmp_lt_u64_e64 s[0:1], s[14:15], 2
	v_mov_b32_e32 v5, 0
	v_add_u32_sdwa v9, s6, v1 dst_sel:DWORD dst_unused:UNUSED_PAD src0_sel:DWORD src1_sel:WORD_1
	v_mov_b32_e32 v10, v7
	s_and_b64 vcc, exec, s[0:1]
	v_mov_b32_e32 v6, 0
	s_cbranch_vccnz .LBB0_8
; %bb.1:
	s_load_dwordx2 s[0:1], s[4:5], 0x10
	s_add_u32 s6, s18, 8
	s_addc_u32 s7, s19, 0
	s_add_u32 s22, s16, 8
	s_addc_u32 s23, s17, 0
	v_mov_b32_e32 v5, 0
	s_waitcnt lgkmcnt(0)
	s_add_u32 s24, s0, 8
	v_mov_b32_e32 v6, 0
	v_mov_b32_e32 v1, v5
	s_addc_u32 s25, s1, 0
	s_mov_b64 s[26:27], 1
	v_mov_b32_e32 v2, v6
.LBB0_2:                                ; =>This Inner Loop Header: Depth=1
	s_load_dwordx2 s[28:29], s[24:25], 0x0
                                        ; implicit-def: $vgpr3_vgpr4
	s_waitcnt lgkmcnt(0)
	v_or_b32_e32 v8, s29, v10
	v_cmp_ne_u64_e32 vcc, 0, v[7:8]
	s_and_saveexec_b64 s[0:1], vcc
	s_xor_b64 s[30:31], exec, s[0:1]
	s_cbranch_execz .LBB0_4
; %bb.3:                                ;   in Loop: Header=BB0_2 Depth=1
	v_cvt_f32_u32_e32 v3, s28
	v_cvt_f32_u32_e32 v4, s29
	s_sub_u32 s0, 0, s28
	s_subb_u32 s1, 0, s29
	v_mac_f32_e32 v3, 0x4f800000, v4
	v_rcp_f32_e32 v3, v3
	v_mul_f32_e32 v3, 0x5f7ffffc, v3
	v_mul_f32_e32 v4, 0x2f800000, v3
	v_trunc_f32_e32 v4, v4
	v_mac_f32_e32 v3, 0xcf800000, v4
	v_cvt_u32_f32_e32 v4, v4
	v_cvt_u32_f32_e32 v3, v3
	v_mul_lo_u32 v8, s0, v4
	v_mul_hi_u32 v11, s0, v3
	v_mul_lo_u32 v13, s1, v3
	v_mul_lo_u32 v12, s0, v3
	v_add_u32_e32 v8, v11, v8
	v_add_u32_e32 v8, v8, v13
	v_mul_hi_u32 v11, v3, v12
	v_mul_lo_u32 v13, v3, v8
	v_mul_hi_u32 v15, v3, v8
	v_mul_hi_u32 v14, v4, v12
	v_mul_lo_u32 v12, v4, v12
	v_mul_hi_u32 v16, v4, v8
	v_add_co_u32_e32 v11, vcc, v11, v13
	v_addc_co_u32_e32 v13, vcc, 0, v15, vcc
	v_mul_lo_u32 v8, v4, v8
	v_add_co_u32_e32 v11, vcc, v11, v12
	v_addc_co_u32_e32 v11, vcc, v13, v14, vcc
	v_addc_co_u32_e32 v12, vcc, 0, v16, vcc
	v_add_co_u32_e32 v8, vcc, v11, v8
	v_addc_co_u32_e32 v11, vcc, 0, v12, vcc
	v_add_co_u32_e32 v3, vcc, v3, v8
	v_addc_co_u32_e32 v4, vcc, v4, v11, vcc
	v_mul_lo_u32 v8, s0, v4
	v_mul_hi_u32 v11, s0, v3
	v_mul_lo_u32 v12, s1, v3
	v_mul_lo_u32 v13, s0, v3
	v_add_u32_e32 v8, v11, v8
	v_add_u32_e32 v8, v8, v12
	v_mul_lo_u32 v14, v3, v8
	v_mul_hi_u32 v15, v3, v13
	v_mul_hi_u32 v16, v3, v8
	;; [unrolled: 1-line block ×3, first 2 shown]
	v_mul_lo_u32 v13, v4, v13
	v_mul_hi_u32 v11, v4, v8
	v_add_co_u32_e32 v14, vcc, v15, v14
	v_addc_co_u32_e32 v15, vcc, 0, v16, vcc
	v_mul_lo_u32 v8, v4, v8
	v_add_co_u32_e32 v13, vcc, v14, v13
	v_addc_co_u32_e32 v12, vcc, v15, v12, vcc
	v_addc_co_u32_e32 v11, vcc, 0, v11, vcc
	v_add_co_u32_e32 v8, vcc, v12, v8
	v_addc_co_u32_e32 v11, vcc, 0, v11, vcc
	v_add_co_u32_e32 v8, vcc, v3, v8
	v_addc_co_u32_e32 v11, vcc, v4, v11, vcc
	v_mad_u64_u32 v[3:4], s[0:1], v9, v11, 0
	v_mul_hi_u32 v12, v9, v8
	v_add_co_u32_e32 v13, vcc, v12, v3
	v_addc_co_u32_e32 v14, vcc, 0, v4, vcc
	v_mad_u64_u32 v[3:4], s[0:1], v10, v8, 0
	v_mad_u64_u32 v[11:12], s[0:1], v10, v11, 0
	v_add_co_u32_e32 v3, vcc, v13, v3
	v_addc_co_u32_e32 v3, vcc, v14, v4, vcc
	v_addc_co_u32_e32 v4, vcc, 0, v12, vcc
	v_add_co_u32_e32 v8, vcc, v3, v11
	v_addc_co_u32_e32 v11, vcc, 0, v4, vcc
	v_mul_lo_u32 v12, s29, v8
	v_mul_lo_u32 v13, s28, v11
	v_mad_u64_u32 v[3:4], s[0:1], s28, v8, 0
	v_add3_u32 v4, v4, v13, v12
	v_sub_u32_e32 v12, v10, v4
	v_mov_b32_e32 v13, s29
	v_sub_co_u32_e32 v3, vcc, v9, v3
	v_subb_co_u32_e64 v12, s[0:1], v12, v13, vcc
	v_subrev_co_u32_e64 v13, s[0:1], s28, v3
	v_subbrev_co_u32_e64 v12, s[0:1], 0, v12, s[0:1]
	v_cmp_le_u32_e64 s[0:1], s29, v12
	v_cndmask_b32_e64 v14, 0, -1, s[0:1]
	v_cmp_le_u32_e64 s[0:1], s28, v13
	v_cndmask_b32_e64 v13, 0, -1, s[0:1]
	v_cmp_eq_u32_e64 s[0:1], s29, v12
	v_cndmask_b32_e64 v12, v14, v13, s[0:1]
	v_add_co_u32_e64 v13, s[0:1], 2, v8
	v_addc_co_u32_e64 v14, s[0:1], 0, v11, s[0:1]
	v_add_co_u32_e64 v15, s[0:1], 1, v8
	v_addc_co_u32_e64 v16, s[0:1], 0, v11, s[0:1]
	v_subb_co_u32_e32 v4, vcc, v10, v4, vcc
	v_cmp_ne_u32_e64 s[0:1], 0, v12
	v_cmp_le_u32_e32 vcc, s29, v4
	v_cndmask_b32_e64 v12, v16, v14, s[0:1]
	v_cndmask_b32_e64 v14, 0, -1, vcc
	v_cmp_le_u32_e32 vcc, s28, v3
	v_cndmask_b32_e64 v3, 0, -1, vcc
	v_cmp_eq_u32_e32 vcc, s29, v4
	v_cndmask_b32_e32 v3, v14, v3, vcc
	v_cmp_ne_u32_e32 vcc, 0, v3
	v_cndmask_b32_e64 v3, v15, v13, s[0:1]
	v_cndmask_b32_e32 v4, v11, v12, vcc
	v_cndmask_b32_e32 v3, v8, v3, vcc
.LBB0_4:                                ;   in Loop: Header=BB0_2 Depth=1
	s_andn2_saveexec_b64 s[0:1], s[30:31]
	s_cbranch_execz .LBB0_6
; %bb.5:                                ;   in Loop: Header=BB0_2 Depth=1
	v_cvt_f32_u32_e32 v3, s28
	s_sub_i32 s30, 0, s28
	v_rcp_iflag_f32_e32 v3, v3
	v_mul_f32_e32 v3, 0x4f7ffffe, v3
	v_cvt_u32_f32_e32 v3, v3
	v_mul_lo_u32 v4, s30, v3
	v_mul_hi_u32 v4, v3, v4
	v_add_u32_e32 v3, v3, v4
	v_mul_hi_u32 v3, v9, v3
	v_mul_lo_u32 v4, v3, s28
	v_add_u32_e32 v8, 1, v3
	v_sub_u32_e32 v4, v9, v4
	v_subrev_u32_e32 v11, s28, v4
	v_cmp_le_u32_e32 vcc, s28, v4
	v_cndmask_b32_e32 v4, v4, v11, vcc
	v_cndmask_b32_e32 v3, v3, v8, vcc
	v_add_u32_e32 v8, 1, v3
	v_cmp_le_u32_e32 vcc, s28, v4
	v_cndmask_b32_e32 v3, v3, v8, vcc
	v_mov_b32_e32 v4, v7
.LBB0_6:                                ;   in Loop: Header=BB0_2 Depth=1
	s_or_b64 exec, exec, s[0:1]
	v_mul_lo_u32 v8, v4, s28
	v_mul_lo_u32 v13, v3, s29
	v_mad_u64_u32 v[11:12], s[0:1], v3, s28, 0
	s_load_dwordx2 s[0:1], s[22:23], 0x0
	s_load_dwordx2 s[28:29], s[6:7], 0x0
	v_add3_u32 v8, v12, v13, v8
	v_sub_co_u32_e32 v9, vcc, v9, v11
	v_subb_co_u32_e32 v8, vcc, v10, v8, vcc
	s_waitcnt lgkmcnt(0)
	v_mul_lo_u32 v10, s0, v8
	v_mul_lo_u32 v11, s1, v9
	v_mad_u64_u32 v[5:6], s[0:1], s0, v9, v[5:6]
	v_mul_lo_u32 v8, s28, v8
	v_mul_lo_u32 v12, s29, v9
	v_mad_u64_u32 v[1:2], s[0:1], s28, v9, v[1:2]
	s_add_u32 s26, s26, 1
	s_addc_u32 s27, s27, 0
	s_add_u32 s6, s6, 8
	v_add3_u32 v2, v12, v2, v8
	s_addc_u32 s7, s7, 0
	v_mov_b32_e32 v8, s14
	s_add_u32 s22, s22, 8
	v_mov_b32_e32 v9, s15
	s_addc_u32 s23, s23, 0
	v_cmp_ge_u64_e32 vcc, s[26:27], v[8:9]
	s_add_u32 s24, s24, 8
	v_add3_u32 v6, v11, v6, v10
	s_addc_u32 s25, s25, 0
	s_cbranch_vccnz .LBB0_9
; %bb.7:                                ;   in Loop: Header=BB0_2 Depth=1
	v_mov_b32_e32 v10, v4
	v_mov_b32_e32 v9, v3
	s_branch .LBB0_2
.LBB0_8:
	v_mov_b32_e32 v1, v5
	v_mov_b32_e32 v3, v9
	;; [unrolled: 1-line block ×4, first 2 shown]
.LBB0_9:
	s_load_dwordx2 s[0:1], s[4:5], 0x28
	s_lshl_b64 s[14:15], s[14:15], 3
	s_add_u32 s4, s18, s14
	s_addc_u32 s5, s19, s15
                                        ; implicit-def: $sgpr18
                                        ; implicit-def: $vgpr7
                                        ; implicit-def: $vgpr8
                                        ; implicit-def: $vgpr9
                                        ; implicit-def: $vgpr12
                                        ; implicit-def: $vgpr15
	s_waitcnt lgkmcnt(0)
	v_cmp_gt_u64_e32 vcc, s[0:1], v[3:4]
	v_cmp_le_u64_e64 s[0:1], s[0:1], v[3:4]
	s_and_saveexec_b64 s[6:7], s[0:1]
	s_xor_b64 s[0:1], exec, s[6:7]
; %bb.10:
	s_mov_b32 s6, 0x1745d18
	v_mul_hi_u32 v5, v0, s6
	s_mov_b32 s18, 0
	v_mul_u32_u24_e32 v5, 0xb0, v5
	v_sub_u32_e32 v7, v0, v5
	v_add_u32_e32 v8, 0xb0, v7
	v_add_u32_e32 v9, 0x160, v7
	;; [unrolled: 1-line block ×4, first 2 shown]
                                        ; implicit-def: $vgpr0
                                        ; implicit-def: $vgpr5_vgpr6
; %bb.11:
	s_or_saveexec_b64 s[6:7], s[0:1]
	v_mov_b32_e32 v10, s18
	v_mov_b32_e32 v21, s18
	v_mov_b32_e32 v19, s18
	v_mov_b32_e32 v20, s18
	v_mov_b32_e32 v26, s18
                                        ; implicit-def: $vgpr18
                                        ; implicit-def: $vgpr16
                                        ; implicit-def: $vgpr25
                                        ; implicit-def: $vgpr14
                                        ; implicit-def: $vgpr22
                                        ; implicit-def: $vgpr13
                                        ; implicit-def: $vgpr23
                                        ; implicit-def: $vgpr11
                                        ; implicit-def: $vgpr24
                                        ; implicit-def: $vgpr17
	s_xor_b64 exec, exec, s[6:7]
	s_cbranch_execz .LBB0_13
; %bb.12:
	s_add_u32 s0, s16, s14
	s_mov_b32 s14, 0x1745d18
	v_mul_hi_u32 v7, v0, s14
	s_addc_u32 s1, s17, s15
	s_load_dwordx2 s[0:1], s[0:1], 0x0
	v_lshlrev_b64 v[5:6], 2, v[5:6]
	v_mul_u32_u24_e32 v7, 0xb0, v7
	v_sub_u32_e32 v7, v0, v7
	v_mad_u64_u32 v[8:9], s[14:15], s20, v7, 0
	s_waitcnt lgkmcnt(0)
	v_mul_lo_u32 v14, s1, v3
	v_mul_lo_u32 v15, s0, v4
	v_mad_u64_u32 v[10:11], s[0:1], s0, v3, 0
	v_mov_b32_e32 v0, v9
	v_mad_u64_u32 v[12:13], s[0:1], s21, v7, v[0:1]
	v_add3_u32 v11, v11, v15, v14
	v_lshlrev_b64 v[10:11], 2, v[10:11]
	v_mov_b32_e32 v9, v12
	v_mov_b32_e32 v0, s9
	v_add_co_u32_e64 v12, s[0:1], s8, v10
	v_add_u32_e32 v13, 0x370, v7
	v_addc_co_u32_e64 v0, s[0:1], v0, v11, s[0:1]
	v_mad_u64_u32 v[10:11], s[0:1], s20, v13, 0
	v_add_co_u32_e64 v40, s[0:1], v12, v5
	v_addc_co_u32_e64 v41, s[0:1], v0, v6, s[0:1]
	v_mov_b32_e32 v0, v11
	v_lshlrev_b64 v[5:6], 2, v[8:9]
	v_mad_u64_u32 v[11:12], s[0:1], s21, v13, v[0:1]
	v_add_u32_e32 v8, 0xb0, v7
	v_mad_u64_u32 v[12:13], s[0:1], s20, v8, 0
	v_add_co_u32_e64 v5, s[0:1], v40, v5
	v_mov_b32_e32 v0, v13
	v_addc_co_u32_e64 v6, s[0:1], v41, v6, s[0:1]
	v_mad_u64_u32 v[13:14], s[0:1], s21, v8, v[0:1]
	v_add_u32_e32 v16, 0x420, v7
	v_mad_u64_u32 v[14:15], s[0:1], s20, v16, 0
	v_lshlrev_b64 v[9:10], 2, v[10:11]
	v_add_co_u32_e64 v17, s[0:1], v40, v9
	v_mov_b32_e32 v0, v15
	v_add_u32_e32 v9, 0x160, v7
	v_addc_co_u32_e64 v18, s[0:1], v41, v10, s[0:1]
	v_lshlrev_b64 v[10:11], 2, v[12:13]
	v_mad_u64_u32 v[12:13], s[0:1], s21, v16, v[0:1]
	v_mad_u64_u32 v[19:20], s[0:1], s20, v9, 0
	v_add_co_u32_e64 v22, s[0:1], v40, v10
	v_mov_b32_e32 v15, v12
	v_mov_b32_e32 v0, v20
	v_addc_co_u32_e64 v23, s[0:1], v41, v11, s[0:1]
	v_lshlrev_b64 v[10:11], 2, v[14:15]
	v_mad_u64_u32 v[12:13], s[0:1], s21, v9, v[0:1]
	v_add_u32_e32 v15, 0x4d0, v7
	v_mad_u64_u32 v[13:14], s[0:1], s20, v15, 0
	v_add_co_u32_e64 v24, s[0:1], v40, v10
	v_mov_b32_e32 v0, v14
	v_addc_co_u32_e64 v25, s[0:1], v41, v11, s[0:1]
	v_mov_b32_e32 v20, v12
	v_mad_u64_u32 v[14:15], s[0:1], s21, v15, v[0:1]
	v_add_u32_e32 v12, 0x210, v7
	v_mad_u64_u32 v[15:16], s[0:1], s20, v12, 0
	v_lshlrev_b64 v[10:11], 2, v[19:20]
	v_add_co_u32_e64 v26, s[0:1], v40, v10
	v_mov_b32_e32 v0, v16
	v_addc_co_u32_e64 v27, s[0:1], v41, v11, s[0:1]
	v_lshlrev_b64 v[10:11], 2, v[13:14]
	v_mad_u64_u32 v[13:14], s[0:1], s21, v12, v[0:1]
	v_add_u32_e32 v14, 0x580, v7
	v_mad_u64_u32 v[19:20], s[0:1], s20, v14, 0
	v_add_co_u32_e64 v28, s[0:1], v40, v10
	v_mov_b32_e32 v16, v13
	v_addc_co_u32_e64 v29, s[0:1], v41, v11, s[0:1]
	v_lshlrev_b64 v[10:11], 2, v[15:16]
	v_add_u32_e32 v15, 0x2c0, v7
	v_mov_b32_e32 v0, v20
	v_mad_u64_u32 v[30:31], s[0:1], s20, v15, 0
	v_mad_u64_u32 v[13:14], s[0:1], s21, v14, v[0:1]
	v_add_co_u32_e64 v32, s[0:1], v40, v10
	v_mov_b32_e32 v0, v31
	v_addc_co_u32_e64 v33, s[0:1], v41, v11, s[0:1]
	v_mov_b32_e32 v20, v13
	v_mad_u64_u32 v[13:14], s[0:1], s21, v15, v[0:1]
	v_lshlrev_b64 v[10:11], 2, v[19:20]
	v_add_co_u32_e64 v34, s[0:1], v40, v10
	v_mov_b32_e32 v31, v13
	v_add_u32_e32 v13, 0x630, v7
	v_addc_co_u32_e64 v35, s[0:1], v41, v11, s[0:1]
	v_lshlrev_b64 v[10:11], 2, v[30:31]
	v_mad_u64_u32 v[30:31], s[0:1], s20, v13, 0
	v_add_co_u32_e64 v36, s[0:1], v40, v10
	v_mov_b32_e32 v0, v31
	v_addc_co_u32_e64 v37, s[0:1], v41, v11, s[0:1]
	v_mad_u64_u32 v[38:39], s[0:1], s21, v13, v[0:1]
	global_load_dword v10, v[5:6], off
	global_load_dword v16, v[17:18], off
	;; [unrolled: 1-line block ×8, first 2 shown]
	v_mov_b32_e32 v31, v38
	v_lshlrev_b64 v[5:6], 2, v[30:31]
	v_add_co_u32_e64 v5, s[0:1], v40, v5
	v_addc_co_u32_e64 v6, s[0:1], v41, v6, s[0:1]
	global_load_dword v17, v[5:6], off
	global_load_dword v26, v[36:37], off
	s_waitcnt vmcnt(8)
	v_lshrrev_b32_e32 v18, 16, v16
	s_waitcnt vmcnt(6)
	v_lshrrev_b32_e32 v25, 16, v14
	;; [unrolled: 2-line block ×5, first 2 shown]
.LBB0_13:
	s_or_b64 exec, exec, s[6:7]
	v_lshrrev_b32_e32 v0, 16, v10
	v_sub_f16_e32 v5, v10, v16
	v_sub_f16_e32 v18, v0, v18
	v_fma_f16 v6, v10, 2.0, -v5
	v_fma_f16 v27, v0, 2.0, -v18
	v_sub_f16_e32 v0, v21, v14
	v_fma_f16 v16, v21, 2.0, -v0
	v_sub_f16_e32 v13, v19, v13
	v_lshl_add_u32 v32, v7, 2, 0
	v_pack_b32_f16 v5, v6, v5
	v_fma_f16 v28, v19, 2.0, -v13
	v_sub_f16_e32 v29, v20, v11
	ds_write_b32 v32, v5
	v_lshl_add_u32 v5, v8, 2, 0
	v_pack_b32_f16 v0, v16, v0
	v_fma_f16 v30, v20, 2.0, -v29
	s_waitcnt vmcnt(0)
	v_sub_f16_e32 v17, v26, v17
	ds_write_b32 v5, v0
	v_lshl_add_u32 v6, v9, 2, 0
	v_pack_b32_f16 v0, v28, v13
	v_lshrrev_b32_e32 v21, 16, v21
	v_fma_f16 v31, v26, 2.0, -v17
	ds_write_b32 v6, v0
	v_lshl_add_u32 v28, v12, 2, 0
	v_pack_b32_f16 v0, v30, v29
	v_sub_f16_e32 v25, v21, v25
	v_lshlrev_b32_e32 v14, 1, v7
	v_lshlrev_b32_e32 v11, 1, v9
	;; [unrolled: 1-line block ×3, first 2 shown]
	ds_write_b32 v28, v0
	v_lshl_add_u32 v9, v15, 2, 0
	v_pack_b32_f16 v0, v31, v17
	v_fma_f16 v21, v21, 2.0, -v25
	v_lshlrev_b32_e32 v10, 1, v8
	v_lshlrev_b32_e32 v12, 1, v15
	ds_write_b32 v9, v0
	v_sub_u32_e32 v0, v32, v14
	v_sub_u32_e32 v17, v28, v13
	v_pack_b32_f16 v27, v27, v18
	v_pack_b32_f16 v21, v21, v25
	v_lshrrev_b32_e32 v19, 16, v19
	s_load_dwordx2 s[4:5], s[4:5], 0x0
	s_waitcnt lgkmcnt(0)
	s_barrier
	v_sub_u32_e32 v15, v5, v10
	v_sub_u32_e32 v16, v6, v11
	ds_read_u16 v29, v0
	ds_read_u16 v30, v0 offset:1760
	ds_read_u16 v31, v0 offset:2112
	;; [unrolled: 1-line block ×4, first 2 shown]
	v_sub_u32_e32 v18, v9, v12
	ds_read_u16 v35, v17
	ds_read_u16 v36, v18
	;; [unrolled: 1-line block ×4, first 2 shown]
	ds_read_u16 v39, v0 offset:3168
	s_waitcnt lgkmcnt(0)
	s_barrier
	ds_write_b32 v32, v27
	ds_write_b32 v5, v21
	v_sub_f16_e32 v21, v19, v22
	v_lshrrev_b32_e32 v20, 16, v20
	v_fma_f16 v19, v19, 2.0, -v21
	v_sub_f16_e32 v22, v20, v23
	v_lshrrev_b32_e32 v23, 16, v26
	v_fma_f16 v20, v20, 2.0, -v22
	v_sub_f16_e32 v24, v23, v24
	v_pack_b32_f16 v19, v19, v21
	v_fma_f16 v23, v23, 2.0, -v24
	ds_write_b32 v6, v19
	v_pack_b32_f16 v19, v20, v22
	ds_write_b32 v28, v19
	v_pack_b32_f16 v19, v23, v24
	ds_write_b32 v9, v19
	v_and_b32_e32 v19, 1, v7
	v_lshlrev_b32_e32 v20, 2, v19
	s_waitcnt lgkmcnt(0)
	s_barrier
	global_load_dword v20, v20, s[12:13]
	ds_read_u16 v21, v0 offset:1760
	ds_read_u16 v22, v0 offset:2112
	;; [unrolled: 1-line block ×5, first 2 shown]
	ds_read_u16 v26, v16
	ds_read_u16 v27, v15
	;; [unrolled: 1-line block ×3, first 2 shown]
	s_movk_i32 s0, 0x1fc
	v_and_or_b32 v40, v14, s0, v19
	v_lshl_add_u32 v40, v40, 1, 0
	s_movk_i32 s0, 0x3fc
	s_waitcnt vmcnt(0) lgkmcnt(7)
	v_mul_f16_sdwa v32, v21, v20 dst_sel:DWORD dst_unused:UNUSED_PAD src0_sel:DWORD src1_sel:WORD_1
	v_fma_f16 v32, v30, v20, v32
	v_mul_f16_sdwa v30, v30, v20 dst_sel:DWORD dst_unused:UNUSED_PAD src0_sel:DWORD src1_sel:WORD_1
	v_fma_f16 v21, v21, v20, -v30
	s_waitcnt lgkmcnt(6)
	v_mul_f16_sdwa v30, v22, v20 dst_sel:DWORD dst_unused:UNUSED_PAD src0_sel:DWORD src1_sel:WORD_1
	v_fma_f16 v30, v31, v20, v30
	v_mul_f16_sdwa v31, v31, v20 dst_sel:DWORD dst_unused:UNUSED_PAD src0_sel:DWORD src1_sel:WORD_1
	v_fma_f16 v22, v22, v20, -v31
	s_waitcnt lgkmcnt(5)
	;; [unrolled: 5-line block ×4, first 2 shown]
	v_mul_f16_sdwa v34, v25, v20 dst_sel:DWORD dst_unused:UNUSED_PAD src0_sel:DWORD src1_sel:WORD_1
	v_fma_f16 v34, v39, v20, v34
	v_mul_f16_sdwa v39, v39, v20 dst_sel:DWORD dst_unused:UNUSED_PAD src0_sel:DWORD src1_sel:WORD_1
	v_fma_f16 v20, v25, v20, -v39
	v_sub_f16_e32 v25, v29, v32
	v_fma_f16 v29, v29, 2.0, -v25
	ds_read_u16 v32, v17
	ds_read_u16 v39, v18
	s_waitcnt lgkmcnt(0)
	s_barrier
	ds_write_b16 v40, v29
	ds_write_b16 v40, v25 offset:4
	v_sub_f16_e32 v25, v38, v30
	v_and_or_b32 v30, v10, s0, v19
	v_fma_f16 v29, v38, 2.0, -v25
	v_lshl_add_u32 v30, v30, 1, 0
	s_movk_i32 s0, 0x7fc
	ds_write_b16 v30, v29
	ds_write_b16 v30, v25 offset:4
	v_sub_f16_e32 v25, v37, v31
	v_and_or_b32 v31, v11, s0, v19
	v_fma_f16 v29, v37, 2.0, -v25
	v_lshl_add_u32 v31, v31, 1, 0
	ds_write_b16 v31, v29
	ds_write_b16 v31, v25 offset:4
	v_sub_f16_e32 v25, v35, v33
	v_and_or_b32 v33, v13, s0, v19
	v_fma_f16 v29, v35, 2.0, -v25
	v_lshl_add_u32 v33, v33, 1, 0
	v_sub_f16_e32 v21, v28, v21
	ds_write_b16 v33, v29
	ds_write_b16 v33, v25 offset:4
	v_fma_f16 v25, v28, 2.0, -v21
	v_sub_f16_e32 v28, v36, v34
	v_and_or_b32 v19, v12, s0, v19
	v_fma_f16 v29, v36, 2.0, -v28
	v_lshl_add_u32 v19, v19, 1, 0
	ds_write_b16 v19, v29
	ds_write_b16 v19, v28 offset:4
	s_waitcnt lgkmcnt(0)
	s_barrier
	ds_read_u16 v28, v0
	ds_read_u16 v29, v0 offset:1760
	ds_read_u16 v34, v0 offset:2112
	ds_read_u16 v35, v0 offset:2464
	ds_read_u16 v36, v0 offset:2816
	ds_read_u16 v37, v17
	ds_read_u16 v38, v18
	;; [unrolled: 1-line block ×4, first 2 shown]
	ds_read_u16 v43, v0 offset:3168
	s_waitcnt lgkmcnt(0)
	s_barrier
	ds_write_b16 v40, v25
	ds_write_b16 v40, v21 offset:4
	v_sub_f16_e32 v21, v27, v22
	v_fma_f16 v22, v27, 2.0, -v21
	ds_write_b16 v30, v22
	ds_write_b16 v30, v21 offset:4
	v_sub_f16_e32 v21, v26, v23
	v_fma_f16 v22, v26, 2.0, -v21
	;; [unrolled: 4-line block ×3, first 2 shown]
	v_sub_f16_e32 v20, v39, v20
	v_fma_f16 v23, v39, 2.0, -v20
	ds_write_b16 v33, v22
	ds_write_b16 v33, v21 offset:4
	ds_write_b16 v19, v23
	ds_write_b16 v19, v20 offset:4
	v_and_b32_e32 v19, 3, v7
	v_lshlrev_b32_e32 v20, 2, v19
	s_waitcnt lgkmcnt(0)
	s_barrier
	global_load_dword v20, v20, s[12:13] offset:8
	ds_read_u16 v21, v0 offset:1760
	ds_read_u16 v22, v0 offset:2112
	;; [unrolled: 1-line block ×5, first 2 shown]
	ds_read_u16 v26, v16
	ds_read_u16 v27, v15
	;; [unrolled: 1-line block ×3, first 2 shown]
	s_movk_i32 s0, 0x1f8
	s_waitcnt vmcnt(0) lgkmcnt(7)
	v_mul_f16_sdwa v31, v21, v20 dst_sel:DWORD dst_unused:UNUSED_PAD src0_sel:DWORD src1_sel:WORD_1
	v_fma_f16 v31, v29, v20, v31
	v_mul_f16_sdwa v29, v29, v20 dst_sel:DWORD dst_unused:UNUSED_PAD src0_sel:DWORD src1_sel:WORD_1
	v_fma_f16 v21, v21, v20, -v29
	s_waitcnt lgkmcnt(6)
	v_mul_f16_sdwa v29, v22, v20 dst_sel:DWORD dst_unused:UNUSED_PAD src0_sel:DWORD src1_sel:WORD_1
	v_mul_f16_sdwa v32, v34, v20 dst_sel:DWORD dst_unused:UNUSED_PAD src0_sel:DWORD src1_sel:WORD_1
	v_fma_f16 v29, v34, v20, v29
	v_fma_f16 v22, v22, v20, -v32
	s_waitcnt lgkmcnt(5)
	v_mul_f16_sdwa v32, v23, v20 dst_sel:DWORD dst_unused:UNUSED_PAD src0_sel:DWORD src1_sel:WORD_1
	v_mul_f16_sdwa v33, v35, v20 dst_sel:DWORD dst_unused:UNUSED_PAD src0_sel:DWORD src1_sel:WORD_1
	;; [unrolled: 1-line block ×3, first 2 shown]
	v_fma_f16 v32, v35, v20, v32
	v_fma_f16 v23, v23, v20, -v33
	s_waitcnt lgkmcnt(4)
	v_mul_f16_sdwa v33, v24, v20 dst_sel:DWORD dst_unused:UNUSED_PAD src0_sel:DWORD src1_sel:WORD_1
	v_fma_f16 v24, v24, v20, -v34
	s_waitcnt lgkmcnt(3)
	v_mul_f16_sdwa v34, v25, v20 dst_sel:DWORD dst_unused:UNUSED_PAD src0_sel:DWORD src1_sel:WORD_1
	v_mul_f16_sdwa v35, v43, v20 dst_sel:DWORD dst_unused:UNUSED_PAD src0_sel:DWORD src1_sel:WORD_1
	v_fma_f16 v33, v36, v20, v33
	v_fma_f16 v34, v43, v20, v34
	v_fma_f16 v20, v25, v20, -v35
	v_sub_f16_e32 v25, v28, v31
	v_and_or_b32 v36, v14, s0, v19
	v_fma_f16 v28, v28, 2.0, -v25
	v_lshl_add_u32 v36, v36, 1, 0
	s_movk_i32 s0, 0x3f8
	ds_read_u16 v31, v17
	ds_read_u16 v35, v18
	s_waitcnt lgkmcnt(0)
	s_barrier
	ds_write_b16 v36, v28
	ds_write_b16 v36, v25 offset:8
	v_sub_f16_e32 v25, v42, v29
	v_and_or_b32 v29, v10, s0, v19
	v_fma_f16 v28, v42, 2.0, -v25
	v_lshl_add_u32 v29, v29, 1, 0
	s_movk_i32 s0, 0x7f8
	ds_write_b16 v29, v28
	ds_write_b16 v29, v25 offset:8
	v_sub_f16_e32 v25, v41, v32
	v_and_or_b32 v32, v11, s0, v19
	v_fma_f16 v28, v41, 2.0, -v25
	v_lshl_add_u32 v32, v32, 1, 0
	ds_write_b16 v32, v28
	ds_write_b16 v32, v25 offset:8
	v_sub_f16_e32 v25, v37, v33
	v_and_or_b32 v33, v13, s0, v19
	v_fma_f16 v28, v37, 2.0, -v25
	v_lshl_add_u32 v33, v33, 1, 0
	ds_write_b16 v33, v28
	ds_write_b16 v33, v25 offset:8
	v_sub_f16_e32 v21, v30, v21
	v_sub_f16_e32 v28, v38, v34
	v_and_or_b32 v19, v12, s0, v19
	v_fma_f16 v25, v30, 2.0, -v21
	v_fma_f16 v30, v38, 2.0, -v28
	v_lshl_add_u32 v19, v19, 1, 0
	ds_write_b16 v19, v30
	ds_write_b16 v19, v28 offset:8
	s_waitcnt lgkmcnt(0)
	s_barrier
	ds_read_u16 v28, v0
	ds_read_u16 v30, v0 offset:1760
	ds_read_u16 v34, v0 offset:2112
	;; [unrolled: 1-line block ×4, first 2 shown]
	ds_read_u16 v39, v17
	ds_read_u16 v40, v18
	;; [unrolled: 1-line block ×4, first 2 shown]
	ds_read_u16 v43, v0 offset:3168
	s_waitcnt lgkmcnt(0)
	s_barrier
	ds_write_b16 v36, v25
	ds_write_b16 v36, v21 offset:8
	v_sub_f16_e32 v21, v27, v22
	v_fma_f16 v22, v27, 2.0, -v21
	ds_write_b16 v29, v22
	ds_write_b16 v29, v21 offset:8
	v_sub_f16_e32 v21, v26, v23
	v_fma_f16 v22, v26, 2.0, -v21
	;; [unrolled: 4-line block ×3, first 2 shown]
	v_sub_f16_e32 v20, v35, v20
	v_fma_f16 v23, v35, 2.0, -v20
	ds_write_b16 v33, v22
	ds_write_b16 v33, v21 offset:8
	ds_write_b16 v19, v23
	ds_write_b16 v19, v20 offset:8
	v_and_b32_e32 v19, 7, v7
	v_lshlrev_b32_e32 v20, 2, v19
	s_waitcnt lgkmcnt(0)
	s_barrier
	global_load_dword v20, v20, s[12:13] offset:24
	ds_read_u16 v21, v0 offset:1760
	ds_read_u16 v22, v0 offset:2112
	;; [unrolled: 1-line block ×5, first 2 shown]
	ds_read_u16 v31, v16
	ds_read_u16 v32, v15
	;; [unrolled: 1-line block ×3, first 2 shown]
	s_movk_i32 s0, 0x1f0
	s_waitcnt vmcnt(0)
	v_mul_f16_sdwa v29, v30, v20 dst_sel:DWORD dst_unused:UNUSED_PAD src0_sel:DWORD src1_sel:WORD_1
	s_waitcnt lgkmcnt(7)
	v_mul_f16_sdwa v27, v21, v20 dst_sel:DWORD dst_unused:UNUSED_PAD src0_sel:DWORD src1_sel:WORD_1
	v_fma_f16 v21, v21, v20, -v29
	s_waitcnt lgkmcnt(6)
	v_mul_f16_sdwa v29, v22, v20 dst_sel:DWORD dst_unused:UNUSED_PAD src0_sel:DWORD src1_sel:WORD_1
	v_fma_f16 v27, v30, v20, v27
	v_fma_f16 v29, v34, v20, v29
	v_mul_f16_sdwa v30, v34, v20 dst_sel:DWORD dst_unused:UNUSED_PAD src0_sel:DWORD src1_sel:WORD_1
	v_mul_f16_sdwa v33, v37, v20 dst_sel:DWORD dst_unused:UNUSED_PAD src0_sel:DWORD src1_sel:WORD_1
	;; [unrolled: 1-line block ×3, first 2 shown]
	v_fma_f16 v22, v22, v20, -v30
	s_waitcnt lgkmcnt(5)
	v_mul_f16_sdwa v30, v23, v20 dst_sel:DWORD dst_unused:UNUSED_PAD src0_sel:DWORD src1_sel:WORD_1
	v_fma_f16 v23, v23, v20, -v33
	s_waitcnt lgkmcnt(4)
	v_mul_f16_sdwa v33, v24, v20 dst_sel:DWORD dst_unused:UNUSED_PAD src0_sel:DWORD src1_sel:WORD_1
	;; [unrolled: 3-line block ×3, first 2 shown]
	v_mul_f16_sdwa v35, v43, v20 dst_sel:DWORD dst_unused:UNUSED_PAD src0_sel:DWORD src1_sel:WORD_1
	v_fma_f16 v30, v37, v20, v30
	v_fma_f16 v33, v38, v20, v33
	;; [unrolled: 1-line block ×3, first 2 shown]
	v_fma_f16 v20, v25, v20, -v35
	v_sub_f16_e32 v25, v28, v27
	v_fma_f16 v27, v28, 2.0, -v25
	v_and_or_b32 v28, v14, s0, v19
	v_lshl_add_u32 v37, v28, 1, 0
	s_movk_i32 s0, 0x3f0
	ds_read_u16 v35, v17
	ds_read_u16 v36, v18
	s_waitcnt lgkmcnt(0)
	s_barrier
	ds_write_b16 v37, v27
	ds_write_b16 v37, v25 offset:16
	v_sub_f16_e32 v25, v42, v29
	v_and_or_b32 v28, v10, s0, v19
	v_fma_f16 v27, v42, 2.0, -v25
	v_lshl_add_u32 v38, v28, 1, 0
	s_movk_i32 s0, 0x7f0
	ds_write_b16 v38, v27
	ds_write_b16 v38, v25 offset:16
	v_sub_f16_e32 v25, v41, v30
	v_and_or_b32 v28, v11, s0, v19
	v_fma_f16 v27, v41, 2.0, -v25
	v_lshl_add_u32 v30, v28, 1, 0
	ds_write_b16 v30, v27
	ds_write_b16 v30, v25 offset:16
	v_sub_f16_e32 v25, v39, v33
	v_and_or_b32 v28, v13, s0, v19
	v_fma_f16 v27, v39, 2.0, -v25
	v_lshl_add_u32 v33, v28, 1, 0
	ds_write_b16 v33, v27
	ds_write_b16 v33, v25 offset:16
	v_sub_f16_e32 v21, v26, v21
	v_sub_f16_e32 v25, v40, v34
	v_and_or_b32 v19, v12, s0, v19
	v_fma_f16 v39, v26, 2.0, -v21
	v_fma_f16 v26, v40, 2.0, -v25
	v_lshl_add_u32 v19, v19, 1, 0
	ds_write_b16 v19, v26
	ds_write_b16 v19, v25 offset:16
	s_waitcnt lgkmcnt(0)
	s_barrier
	ds_read_u16 v42, v0
	ds_read_u16 v28, v0 offset:1760
	ds_read_u16 v27, v0 offset:2112
	;; [unrolled: 1-line block ×4, first 2 shown]
	ds_read_u16 v43, v17
	ds_read_u16 v44, v18
	;; [unrolled: 1-line block ×4, first 2 shown]
	ds_read_u16 v29, v0 offset:3168
	s_waitcnt lgkmcnt(0)
	s_barrier
	ds_write_b16 v37, v39
	ds_write_b16 v37, v21 offset:16
	v_sub_f16_e32 v21, v32, v22
	v_fma_f16 v22, v32, 2.0, -v21
	ds_write_b16 v38, v22
	ds_write_b16 v38, v21 offset:16
	v_sub_f16_e32 v21, v31, v23
	v_fma_f16 v22, v31, 2.0, -v21
	;; [unrolled: 4-line block ×3, first 2 shown]
	v_sub_f16_e32 v20, v36, v20
	v_and_b32_e32 v31, 15, v7
	v_fma_f16 v23, v36, 2.0, -v20
	ds_write_b16 v33, v22
	ds_write_b16 v33, v21 offset:16
	ds_write_b16 v19, v23
	ds_write_b16 v19, v20 offset:16
	v_lshlrev_b32_e32 v19, 2, v31
	s_waitcnt lgkmcnt(0)
	s_barrier
	global_load_dword v33, v19, s[12:13] offset:56
	ds_read_u16 v39, v0 offset:1760
	ds_read_u16 v38, v0 offset:2112
	;; [unrolled: 1-line block ×4, first 2 shown]
	ds_read_u16 v32, v17
	ds_read_u16 v30, v18
	ds_read_u16 v34, v16
	ds_read_u16 v35, v15
	ds_read_u16 v40, v0 offset:3168
	ds_read_u16 v41, v0
	s_movk_i32 s0, 0x1e0
	v_and_or_b32 v14, v14, s0, v31
	s_movk_i32 s0, 0x3e0
	s_waitcnt vmcnt(0) lgkmcnt(0)
	s_barrier
	v_mul_f16_sdwa v15, v39, v33 dst_sel:DWORD dst_unused:UNUSED_PAD src0_sel:DWORD src1_sel:WORD_1
	v_fma_f16 v15, v28, v33, v15
	v_mul_f16_sdwa v16, v38, v33 dst_sel:DWORD dst_unused:UNUSED_PAD src0_sel:DWORD src1_sel:WORD_1
	v_mul_f16_sdwa v17, v37, v33 dst_sel:DWORD dst_unused:UNUSED_PAD src0_sel:DWORD src1_sel:WORD_1
	v_mul_f16_sdwa v18, v36, v33 dst_sel:DWORD dst_unused:UNUSED_PAD src0_sel:DWORD src1_sel:WORD_1
	v_sub_f16_e32 v22, v42, v15
	v_fma_f16 v16, v27, v33, v16
	v_fma_f16 v17, v25, v33, v17
	;; [unrolled: 1-line block ×3, first 2 shown]
	v_mul_f16_sdwa v19, v40, v33 dst_sel:DWORD dst_unused:UNUSED_PAD src0_sel:DWORD src1_sel:WORD_1
	v_fma_f16 v15, v42, 2.0, -v22
	v_lshl_add_u32 v42, v14, 1, 0
	v_and_or_b32 v14, v10, s0, v31
	s_movk_i32 s0, 0x7e0
	v_fma_f16 v21, v29, v33, v19
	v_sub_f16_e32 v19, v46, v16
	v_sub_f16_e32 v16, v45, v17
	;; [unrolled: 1-line block ×3, first 2 shown]
	v_and_or_b32 v13, v13, s0, v31
	v_fma_f16 v17, v45, 2.0, -v16
	v_fma_f16 v18, v43, 2.0, -v24
	v_sub_f16_e32 v21, v44, v21
	v_lshl_add_u32 v43, v14, 1, 0
	v_and_or_b32 v14, v11, s0, v31
	v_lshl_add_u32 v45, v13, 1, 0
	v_and_or_b32 v13, v12, s0, v31
	s_movk_i32 s0, 0xa0
	v_fma_f16 v20, v46, 2.0, -v19
	v_fma_f16 v23, v44, 2.0, -v21
	v_lshl_add_u32 v44, v14, 1, 0
	v_lshl_add_u32 v46, v13, 1, 0
	v_cmp_gt_u32_e64 s[0:1], s0, v7
	v_lshl_add_u32 v13, v7, 1, 0
	ds_write_b16 v42, v15
	ds_write_b16 v42, v22 offset:32
	ds_write_b16 v43, v20
	ds_write_b16 v43, v19 offset:32
	;; [unrolled: 2-line block ×5, first 2 shown]
	s_waitcnt lgkmcnt(0)
	s_barrier
	s_waitcnt lgkmcnt(0)
                                        ; implicit-def: $vgpr31
	s_and_saveexec_b64 s[6:7], s[0:1]
	s_cbranch_execz .LBB0_15
; %bb.14:
	ds_read_u16 v15, v0
	ds_read_u16 v22, v0 offset:320
	ds_read_u16 v20, v0 offset:640
	;; [unrolled: 1-line block ×10, first 2 shown]
.LBB0_15:
	s_or_b64 exec, exec, s[6:7]
	v_mul_f16_sdwa v25, v25, v33 dst_sel:DWORD dst_unused:UNUSED_PAD src0_sel:DWORD src1_sel:WORD_1
	v_mul_f16_sdwa v14, v28, v33 dst_sel:DWORD dst_unused:UNUSED_PAD src0_sel:DWORD src1_sel:WORD_1
	v_fma_f16 v28, v37, v33, -v25
	v_mul_f16_sdwa v25, v26, v33 dst_sel:DWORD dst_unused:UNUSED_PAD src0_sel:DWORD src1_sel:WORD_1
	v_mul_f16_sdwa v27, v27, v33 dst_sel:DWORD dst_unused:UNUSED_PAD src0_sel:DWORD src1_sel:WORD_1
	v_fma_f16 v26, v36, v33, -v25
	v_mul_f16_sdwa v25, v29, v33 dst_sel:DWORD dst_unused:UNUSED_PAD src0_sel:DWORD src1_sel:WORD_1
	v_fma_f16 v14, v39, v33, -v14
	v_fma_f16 v27, v38, v33, -v27
	;; [unrolled: 1-line block ×3, first 2 shown]
	v_sub_f16_e32 v36, v41, v14
	v_sub_f16_e32 v27, v35, v27
	;; [unrolled: 1-line block ×5, first 2 shown]
	v_fma_f16 v14, v41, 2.0, -v36
	v_fma_f16 v25, v35, 2.0, -v27
	;; [unrolled: 1-line block ×5, first 2 shown]
	s_waitcnt lgkmcnt(0)
	s_barrier
	ds_write_b16 v42, v14
	ds_write_b16 v42, v36 offset:32
	ds_write_b16 v43, v25
	ds_write_b16 v43, v27 offset:32
	;; [unrolled: 2-line block ×5, first 2 shown]
	s_waitcnt lgkmcnt(0)
	s_barrier
	s_waitcnt lgkmcnt(0)
                                        ; implicit-def: $vgpr42
	s_and_saveexec_b64 s[6:7], s[0:1]
	s_cbranch_execz .LBB0_17
; %bb.16:
	ds_read_u16 v14, v0
	ds_read_u16 v36, v0 offset:320
	ds_read_u16 v25, v0 offset:640
	;; [unrolled: 1-line block ×10, first 2 shown]
.LBB0_17:
	s_or_b64 exec, exec, s[6:7]
	v_and_b32_e32 v13, 31, v7
	v_mul_u32_u24_e32 v26, 10, v13
	v_lshlrev_b32_e32 v26, 2, v26
	global_load_dwordx4 v[43:46], v26, s[12:13] offset:120
	global_load_dwordx4 v[47:50], v26, s[12:13] offset:136
	global_load_dwordx2 v[51:52], v26, s[12:13] offset:152
	v_sub_u32_e32 v26, 0, v11
	v_sub_u32_e32 v11, 0, v12
	;; [unrolled: 1-line block ×3, first 2 shown]
	s_waitcnt vmcnt(0) lgkmcnt(0)
	s_barrier
	v_mul_f16_sdwa v12, v36, v43 dst_sel:DWORD dst_unused:UNUSED_PAD src0_sel:DWORD src1_sel:WORD_1
	v_mul_f16_sdwa v30, v22, v43 dst_sel:DWORD dst_unused:UNUSED_PAD src0_sel:DWORD src1_sel:WORD_1
	v_fma_f16 v35, v22, v43, v12
	v_mul_f16_sdwa v12, v25, v44 dst_sel:DWORD dst_unused:UNUSED_PAD src0_sel:DWORD src1_sel:WORD_1
	v_fma_f16 v36, v36, v43, -v30
	v_mul_f16_sdwa v22, v20, v44 dst_sel:DWORD dst_unused:UNUSED_PAD src0_sel:DWORD src1_sel:WORD_1
	v_fma_f16 v30, v20, v44, v12
	v_mul_f16_sdwa v12, v27, v45 dst_sel:DWORD dst_unused:UNUSED_PAD src0_sel:DWORD src1_sel:WORD_1
	v_fma_f16 v32, v25, v44, -v22
	v_mul_f16_sdwa v20, v19, v45 dst_sel:DWORD dst_unused:UNUSED_PAD src0_sel:DWORD src1_sel:WORD_1
	v_fma_f16 v25, v19, v45, v12
	v_mul_f16_sdwa v12, v38, v46 dst_sel:DWORD dst_unused:UNUSED_PAD src0_sel:DWORD src1_sel:WORD_1
	v_mul_f16_sdwa v19, v17, v46 dst_sel:DWORD dst_unused:UNUSED_PAD src0_sel:DWORD src1_sel:WORD_1
	v_fma_f16 v27, v27, v45, -v20
	v_fma_f16 v20, v17, v46, v12
	v_mul_f16_sdwa v12, v37, v47 dst_sel:DWORD dst_unused:UNUSED_PAD src0_sel:DWORD src1_sel:WORD_1
	v_fma_f16 v22, v38, v46, -v19
	v_mul_f16_sdwa v19, v28, v48 dst_sel:DWORD dst_unused:UNUSED_PAD src0_sel:DWORD src1_sel:WORD_1
	v_mul_f16_sdwa v38, v18, v48 dst_sel:DWORD dst_unused:UNUSED_PAD src0_sel:DWORD src1_sel:WORD_1
	;; [unrolled: 1-line block ×5, first 2 shown]
	v_fma_f16 v16, v16, v47, v12
	v_mul_f16_sdwa v12, v34, v50 dst_sel:DWORD dst_unused:UNUSED_PAD src0_sel:DWORD src1_sel:WORD_1
	v_mul_f16_sdwa v41, v23, v50 dst_sel:DWORD dst_unused:UNUSED_PAD src0_sel:DWORD src1_sel:WORD_1
	v_fma_f16 v18, v18, v48, v19
	v_mul_f16_sdwa v43, v33, v51 dst_sel:DWORD dst_unused:UNUSED_PAD src0_sel:DWORD src1_sel:WORD_1
	v_fma_f16 v19, v28, v48, -v38
	v_mul_f16_sdwa v44, v21, v51 dst_sel:DWORD dst_unused:UNUSED_PAD src0_sel:DWORD src1_sel:WORD_1
	v_fma_f16 v28, v24, v49, v39
	v_mul_f16_sdwa v24, v42, v52 dst_sel:DWORD dst_unused:UNUSED_PAD src0_sel:DWORD src1_sel:WORD_1
	v_mul_f16_sdwa v45, v31, v52 dst_sel:DWORD dst_unused:UNUSED_PAD src0_sel:DWORD src1_sel:WORD_1
	v_fma_f16 v17, v37, v47, -v17
	v_fma_f16 v29, v29, v49, -v40
	v_fma_f16 v37, v23, v50, v12
	v_fma_f16 v38, v34, v50, -v41
	v_fma_f16 v39, v21, v51, v43
	v_fma_f16 v40, v33, v51, -v44
	v_fma_f16 v41, v31, v52, v24
	v_fma_f16 v42, v42, v52, -v45
	v_lshrrev_b32_e32 v21, 5, v7
	s_and_saveexec_b64 s[6:7], s[0:1]
	s_cbranch_execz .LBB0_19
; %bb.18:
	v_sub_f16_e32 v24, v36, v42
	v_add_f16_e32 v23, v35, v41
	v_mul_f16_e32 v31, 0xb482, v24
	s_mov_b32 s8, 0xbbad
	v_sub_f16_e32 v43, v32, v40
	v_fma_f16 v33, v23, s8, -v31
	v_add_f16_e32 v34, v30, v39
	v_mul_f16_e32 v44, 0x3853, v43
	s_movk_i32 s9, 0x3abb
	v_add_f16_e32 v33, v15, v33
	v_fma_f16 v45, v34, s9, -v44
	v_sub_f16_e32 v46, v27, v38
	v_add_f16_e32 v33, v45, v33
	v_add_f16_e32 v45, v25, v37
	v_mul_f16_e32 v47, 0xba0c, v46
	s_mov_b32 s14, 0xb93d
	v_fma_f16 v48, v45, s14, -v47
	v_sub_f16_e32 v49, v22, v29
	v_fma_f16 v31, v23, s8, v31
	v_add_f16_e32 v33, v48, v33
	v_add_f16_e32 v48, v20, v28
	v_mul_f16_e32 v50, 0x3b47, v49
	s_movk_i32 s15, 0x36a6
	v_add_f16_e32 v31, v15, v31
	v_fma_f16 v44, v34, s9, v44
	v_fma_f16 v51, v48, s15, -v50
	v_sub_f16_e32 v52, v17, v19
	v_add_f16_e32 v31, v44, v31
	v_fma_f16 v44, v45, s14, v47
	v_add_f16_e32 v33, v51, v33
	v_add_f16_e32 v51, v16, v18
	v_mul_f16_e32 v53, 0xbbeb, v52
	s_mov_b32 s16, 0xb08e
	v_add_f16_e32 v31, v44, v31
	v_fma_f16 v44, v48, s15, v50
	v_add_f16_e32 v31, v44, v31
	v_fma_f16 v44, v51, s16, v53
	v_add_f16_e32 v31, v44, v31
	v_mul_f16_e32 v44, 0xba0c, v24
	v_fma_f16 v47, v23, s14, -v44
	v_mul_f16_e32 v50, 0x3beb, v43
	v_fma_f16 v54, v51, s16, -v53
	v_add_f16_e32 v47, v15, v47
	v_fma_f16 v53, v34, s16, -v50
	v_add_f16_e32 v47, v53, v47
	v_mul_f16_e32 v53, 0xb853, v46
	v_add_f16_e32 v33, v54, v33
	v_fma_f16 v54, v45, s9, -v53
	v_fma_f16 v44, v23, s14, v44
	v_add_f16_e32 v47, v54, v47
	v_mul_f16_e32 v54, 0xb482, v49
	v_add_f16_e32 v44, v15, v44
	v_fma_f16 v50, v34, s16, v50
	v_fma_f16 v55, v48, s8, -v54
	v_add_f16_e32 v44, v50, v44
	v_fma_f16 v50, v45, s9, v53
	v_add_f16_e32 v47, v55, v47
	v_mul_f16_e32 v55, 0x3b47, v52
	v_add_f16_e32 v44, v50, v44
	v_fma_f16 v50, v48, s8, v54
	v_add_f16_e32 v44, v50, v44
	v_fma_f16 v50, v51, s15, v55
	v_add_f16_e32 v44, v50, v44
	v_mul_f16_e32 v50, 0xbbeb, v24
	v_fma_f16 v53, v23, s16, -v50
	v_mul_f16_e32 v54, 0x3482, v43
	v_fma_f16 v56, v51, s15, -v55
	v_add_f16_e32 v53, v15, v53
	v_fma_f16 v55, v34, s8, -v54
	v_add_f16_e32 v53, v55, v53
	v_mul_f16_e32 v55, 0x3b47, v46
	v_add_f16_e32 v47, v56, v47
	v_fma_f16 v56, v45, s15, -v55
	v_fma_f16 v50, v23, s16, v50
	v_add_f16_e32 v53, v56, v53
	v_mul_f16_e32 v56, 0xb853, v49
	v_add_f16_e32 v50, v15, v50
	v_fma_f16 v54, v34, s8, v54
	v_fma_f16 v57, v48, s9, -v56
	v_add_f16_e32 v50, v54, v50
	v_fma_f16 v54, v45, s15, v55
	v_add_f16_e32 v53, v57, v53
	v_mul_f16_e32 v57, 0xba0c, v52
	v_add_f16_e32 v50, v54, v50
	v_fma_f16 v54, v48, s9, v56
	v_add_f16_e32 v50, v54, v50
	v_fma_f16 v54, v51, s14, v57
	v_add_f16_e32 v50, v54, v50
	v_mul_f16_e32 v54, 0xbb47, v24
	v_fma_f16 v55, v23, s15, -v54
	v_mul_f16_e32 v56, 0xba0c, v43
	v_fma_f16 v58, v51, s14, -v57
	v_add_f16_e32 v55, v15, v55
	v_fma_f16 v57, v34, s14, -v56
	v_add_f16_e32 v55, v57, v55
	v_mul_f16_e32 v57, 0x3482, v46
	v_add_f16_e32 v53, v58, v53
	v_fma_f16 v58, v45, s8, -v57
	v_fma_f16 v54, v23, s15, v54
	v_add_f16_e32 v55, v58, v55
	v_mul_f16_e32 v58, 0x3beb, v49
	v_add_f16_e32 v54, v15, v54
	v_fma_f16 v56, v34, s14, v56
	v_fma_f16 v59, v48, s16, -v58
	v_add_f16_e32 v54, v56, v54
	v_fma_f16 v56, v45, s8, v57
	v_add_f16_e32 v12, v15, v35
	v_add_f16_e32 v55, v59, v55
	v_mul_f16_e32 v59, 0x3853, v52
	v_add_f16_e32 v54, v56, v54
	v_fma_f16 v56, v48, s16, v58
	v_add_f16_e32 v12, v12, v30
	v_add_f16_e32 v54, v56, v54
	v_fma_f16 v56, v51, s9, v59
	v_mul_f16_e32 v24, 0xb853, v24
	v_add_f16_e32 v12, v12, v25
	v_add_f16_e32 v54, v56, v54
	v_fma_f16 v56, v23, s9, -v24
	v_mul_f16_e32 v43, 0xbb47, v43
	v_fma_f16 v23, v23, s9, v24
	v_add_f16_e32 v12, v12, v20
	v_add_f16_e32 v56, v15, v56
	v_mul_f16_e32 v46, 0xbbeb, v46
	v_add_f16_e32 v15, v15, v23
	v_fma_f16 v23, v34, s15, v43
	v_add_f16_e32 v12, v12, v16
	v_mul_f16_e32 v49, 0xba0c, v49
	v_add_f16_e32 v15, v23, v15
	v_fma_f16 v23, v45, s16, v46
	;; [unrolled: 4-line block ×3, first 2 shown]
	v_add_f16_e32 v12, v12, v28
	v_fma_f16 v57, v34, s15, -v43
	v_add_f16_e32 v15, v23, v15
	v_fma_f16 v23, v51, s8, v52
	v_add_f16_e32 v12, v12, v37
	v_add_f16_e32 v56, v57, v56
	v_fma_f16 v57, v45, s16, -v46
	v_add_f16_e32 v15, v23, v15
	v_mul_u32_u24_e32 v23, 0x160, v21
	v_add_f16_e32 v12, v12, v39
	v_add_f16_e32 v56, v57, v56
	v_fma_f16 v57, v48, s14, -v49
	v_or_b32_e32 v23, v23, v13
	v_add_f16_e32 v12, v12, v41
	v_fma_f16 v60, v51, s9, -v59
	v_add_f16_e32 v56, v57, v56
	v_fma_f16 v57, v51, s8, -v52
	v_lshl_add_u32 v23, v23, 1, 0
	v_add_f16_e32 v55, v60, v55
	v_add_f16_e32 v56, v57, v56
	ds_write_b16 v23, v12
	ds_write_b16 v23, v15 offset:64
	ds_write_b16 v23, v54 offset:128
	;; [unrolled: 1-line block ×10, first 2 shown]
.LBB0_19:
	s_or_b64 exec, exec, s[6:7]
	v_add_u32_e32 v31, v9, v11
	s_waitcnt lgkmcnt(0)
	s_barrier
	v_add_u32_e32 v33, v6, v26
	v_add_u32_e32 v34, v5, v10
	ds_read_u16 v6, v31
	ds_read_u16 v12, v34
	;; [unrolled: 1-line block ×3, first 2 shown]
	ds_read_u16 v15, v0 offset:1056
	ds_read_u16 v10, v33
	ds_read_u16 v24, v0 offset:3168
	ds_read_u16 v11, v0 offset:2816
	;; [unrolled: 1-line block ×5, first 2 shown]
	s_waitcnt lgkmcnt(0)
	s_barrier
	s_and_saveexec_b64 s[6:7], s[0:1]
	s_cbranch_execz .LBB0_21
; %bb.20:
	v_add_f16_e32 v43, v14, v36
	v_add_f16_e32 v43, v43, v32
	;; [unrolled: 1-line block ×10, first 2 shown]
	v_sub_f16_e32 v35, v35, v41
	v_mul_f16_e32 v41, 0x3abb, v36
	s_movk_i32 s0, 0x3853
	s_mov_b32 s1, 0xb853
	v_mul_f16_e32 v44, 0x36a6, v36
	s_movk_i32 s8, 0x3b47
	s_mov_b32 s9, 0xbb47
	;; [unrolled: 3-line block ×5, first 2 shown]
	v_add_f16_e32 v43, v43, v42
	v_fma_f16 v42, v35, s0, v41
	v_fma_f16 v41, v35, s1, v41
	v_fma_f16 v45, v35, s8, v44
	v_fma_f16 v44, v35, s9, v44
	v_fma_f16 v47, v35, s14, v46
	v_fma_f16 v46, v35, s15, v46
	v_fma_f16 v49, v35, s16, v48
	v_fma_f16 v48, v35, s17, v48
	v_fma_f16 v50, v35, s18, v36
	v_fma_f16 v35, v35, s19, v36
	v_add_f16_e32 v32, v32, v40
	v_add_f16_e32 v42, v14, v42
	;; [unrolled: 1-line block ×11, first 2 shown]
	v_sub_f16_e32 v30, v30, v39
	v_mul_f16_e32 v35, 0x36a6, v32
	v_fma_f16 v36, v30, s8, v35
	v_fma_f16 v35, v30, s9, v35
	v_mul_f16_e32 v39, 0xb93d, v32
	v_add_f16_e32 v35, v35, v41
	v_fma_f16 v40, v30, s16, v39
	v_fma_f16 v39, v30, s17, v39
	v_mul_f16_e32 v41, 0xbbad, v32
	v_add_f16_e32 v36, v36, v42
	v_add_f16_e32 v39, v39, v44
	v_fma_f16 v42, v30, s19, v41
	v_fma_f16 v41, v30, s18, v41
	v_mul_f16_e32 v44, 0xb08e, v32
	v_mul_f16_e32 v32, 0x3abb, v32
	v_add_f16_e32 v40, v40, v45
	v_add_f16_e32 v41, v41, v46
	v_fma_f16 v45, v30, s15, v44
	v_fma_f16 v44, v30, s14, v44
	;; [unrolled: 1-line block ×4, first 2 shown]
	v_add_f16_e32 v27, v27, v38
	v_add_f16_e32 v14, v30, v14
	v_sub_f16_e32 v25, v25, v37
	v_mul_f16_e32 v30, 0xb08e, v27
	v_fma_f16 v32, v25, s14, v30
	v_fma_f16 v30, v25, s15, v30
	v_add_f16_e32 v30, v30, v35
	v_mul_f16_e32 v35, 0xbbad, v27
	v_add_f16_e32 v32, v32, v36
	v_fma_f16 v36, v25, s19, v35
	v_fma_f16 v35, v25, s18, v35
	v_mul_f16_e32 v37, 0x36a6, v27
	v_add_f16_e32 v35, v35, v39
	v_fma_f16 v38, v25, s9, v37
	v_fma_f16 v37, v25, s8, v37
	v_mul_f16_e32 v39, 0x3abb, v27
	v_mul_f16_e32 v27, 0xb93d, v27
	v_add_f16_e32 v36, v36, v40
	v_add_f16_e32 v37, v37, v41
	v_fma_f16 v40, v25, s0, v39
	v_fma_f16 v39, v25, s1, v39
	;; [unrolled: 1-line block ×4, first 2 shown]
	v_add_f16_e32 v22, v22, v29
	v_add_f16_e32 v14, v25, v14
	v_sub_f16_e32 v20, v20, v28
	v_mul_f16_e32 v25, 0xb93d, v22
	v_fma_f16 v27, v20, s16, v25
	v_fma_f16 v25, v20, s17, v25
	v_mul_f16_e32 v28, 0xb08e, v22
	v_add_f16_e32 v25, v25, v30
	v_fma_f16 v29, v20, s15, v28
	v_fma_f16 v28, v20, s14, v28
	v_mul_f16_e32 v30, 0x3abb, v22
	v_add_f16_e32 v27, v27, v32
	v_add_f16_e32 v28, v28, v35
	v_fma_f16 v32, v20, s0, v30
	v_fma_f16 v30, v20, s1, v30
	v_mul_f16_e32 v35, 0xbbad, v22
	v_mul_f16_e32 v22, 0x36a6, v22
	v_add_f16_e32 v17, v17, v19
	v_add_f16_e32 v29, v29, v36
	v_add_f16_e32 v30, v30, v37
	v_fma_f16 v36, v20, s18, v35
	v_fma_f16 v35, v20, s19, v35
	;; [unrolled: 1-line block ×4, first 2 shown]
	v_sub_f16_e32 v16, v16, v18
	v_mul_f16_e32 v18, 0xbbad, v17
	v_add_f16_e32 v14, v20, v14
	v_fma_f16 v19, v16, s18, v18
	v_fma_f16 v18, v16, s19, v18
	v_mul_f16_e32 v20, 0x3abb, v17
	v_add_f16_e32 v18, v18, v25
	v_fma_f16 v22, v16, s1, v20
	v_fma_f16 v20, v16, s0, v20
	v_mul_f16_e32 v25, 0xb93d, v17
	v_add_f16_e32 v19, v19, v27
	v_add_f16_e32 v20, v20, v28
	v_fma_f16 v27, v16, s16, v25
	v_fma_f16 v25, v16, s17, v25
	v_mul_f16_e32 v28, 0x36a6, v17
	v_mul_f16_e32 v17, 0xb08e, v17
	v_add_f16_e32 v22, v22, v29
	v_add_f16_e32 v25, v25, v30
	v_fma_f16 v29, v16, s9, v28
	v_fma_f16 v28, v16, s8, v28
	;; [unrolled: 1-line block ×4, first 2 shown]
	v_add_f16_e32 v42, v42, v47
	v_add_f16_e32 v45, v45, v49
	;; [unrolled: 1-line block ×5, first 2 shown]
	v_mul_u32_u24_e32 v16, 0x160, v21
	v_add_f16_e32 v38, v38, v42
	v_add_f16_e32 v40, v40, v45
	;; [unrolled: 1-line block ×4, first 2 shown]
	v_or_b32_e32 v13, v16, v13
	v_add_f16_e32 v32, v32, v38
	v_add_f16_e32 v36, v36, v40
	;; [unrolled: 1-line block ×4, first 2 shown]
	v_lshl_add_u32 v13, v13, 1, 0
	v_add_f16_e32 v27, v27, v32
	v_add_f16_e32 v29, v29, v36
	;; [unrolled: 1-line block ×4, first 2 shown]
	ds_write_b16 v13, v43
	ds_write_b16 v13, v19 offset:64
	ds_write_b16 v13, v22 offset:128
	;; [unrolled: 1-line block ×10, first 2 shown]
.LBB0_21:
	s_or_b64 exec, exec, s[6:7]
	s_waitcnt lgkmcnt(0)
	s_barrier
	s_and_saveexec_b64 s[0:1], vcc
	s_cbranch_execz .LBB0_23
; %bb.22:
	v_lshlrev_b32_e32 v13, 2, v8
	v_mov_b32_e32 v14, 0
	v_lshlrev_b64 v[16:17], 2, v[13:14]
	v_mov_b32_e32 v8, s13
	v_add_co_u32_e32 v16, vcc, s12, v16
	v_addc_co_u32_e32 v17, vcc, v8, v17, vcc
	global_load_dwordx4 v[16:19], v[16:17], off offset:1400
	v_lshlrev_b32_e32 v13, 2, v7
	v_lshlrev_b64 v[13:14], 2, v[13:14]
	ds_read_u16 v22, v0 offset:1760
	v_add_co_u32_e32 v13, vcc, s12, v13
	v_addc_co_u32_e32 v14, vcc, v8, v14, vcc
	ds_read_u16 v25, v33
	ds_read_u16 v32, v34
	;; [unrolled: 1-line block ×3, first 2 shown]
	global_load_dwordx4 v[27:30], v[13:14], off offset:1400
	v_mul_lo_u32 v20, s5, v3
	v_mul_lo_u32 v21, s4, v4
	v_mad_u64_u32 v[3:4], s[0:1], s4, v3, 0
	ds_read_u16 v8, v0 offset:3168
	ds_read_u16 v13, v0 offset:2816
	;; [unrolled: 1-line block ×5, first 2 shown]
	ds_read_u16 v0, v0
	s_mov_b32 s1, 0xbb9c
	v_add3_u32 v4, v4, v21, v20
	s_movk_i32 s5, 0x3b9c
	s_mov_b32 s4, 0xb8b4
	s_movk_i32 s6, 0x38b4
	s_movk_i32 s0, 0x34f2
	v_lshlrev_b64 v[3:4], 2, v[3:4]
	s_waitcnt vmcnt(1)
	v_mul_f16_sdwa v20, v15, v16 dst_sel:DWORD dst_unused:UNUSED_PAD src0_sel:DWORD src1_sel:WORD_1
	v_mul_f16_sdwa v21, v26, v17 dst_sel:DWORD dst_unused:UNUSED_PAD src0_sel:DWORD src1_sel:WORD_1
	;; [unrolled: 1-line block ×3, first 2 shown]
	s_waitcnt lgkmcnt(1)
	v_mul_f16_sdwa v37, v34, v16 dst_sel:DWORD dst_unused:UNUSED_PAD src0_sel:DWORD src1_sel:WORD_1
	v_mul_f16_sdwa v38, v8, v19 dst_sel:DWORD dst_unused:UNUSED_PAD src0_sel:DWORD src1_sel:WORD_1
	;; [unrolled: 1-line block ×3, first 2 shown]
	v_fma_f16 v20, v34, v16, -v20
	v_fma_f16 v21, v22, v17, -v21
	;; [unrolled: 1-line block ×3, first 2 shown]
	v_mul_f16_sdwa v36, v23, v18 dst_sel:DWORD dst_unused:UNUSED_PAD src0_sel:DWORD src1_sel:WORD_1
	v_fma_f16 v15, v15, v16, v37
	v_fma_f16 v16, v24, v19, v38
	;; [unrolled: 1-line block ×3, first 2 shown]
	v_sub_f16_e32 v19, v20, v21
	v_sub_f16_e32 v37, v20, v8
	;; [unrolled: 1-line block ×3, first 2 shown]
	v_add_f16_e32 v41, v20, v8
	v_add_f16_e32 v20, v20, v32
	v_mul_f16_sdwa v40, v14, v18 dst_sel:DWORD dst_unused:UNUSED_PAD src0_sel:DWORD src1_sel:WORD_1
	v_fma_f16 v14, v14, v18, -v36
	v_add_f16_e32 v20, v21, v20
	v_fma_f16 v18, v23, v18, v40
	v_sub_f16_e32 v22, v8, v14
	v_add_f16_e32 v23, v21, v14
	v_sub_f16_e32 v38, v21, v14
	v_sub_f16_e32 v40, v14, v8
	v_add_f16_e32 v14, v14, v20
	v_sub_f16_e32 v24, v15, v16
	v_sub_f16_e32 v34, v15, v17
	;; [unrolled: 1-line block ×3, first 2 shown]
	v_add_f16_e32 v36, v17, v18
	v_add_f16_e32 v19, v19, v22
	v_fma_f16 v22, v23, -0.5, v32
	v_add_f16_e32 v14, v8, v14
	v_add_f16_e32 v8, v12, v15
	v_sub_f16_e32 v26, v17, v18
	v_add_f16_e32 v23, v34, v35
	v_fma_f16 v34, v36, -0.5, v12
	v_fma_f16 v36, v41, -0.5, v32
	v_fma_f16 v41, v24, s1, v22
	v_fma_f16 v22, v24, s5, v22
	v_add_f16_e32 v8, v8, v17
	v_sub_f16_e32 v42, v17, v15
	v_sub_f16_e32 v43, v18, v16
	v_add_f16_e32 v44, v15, v16
	v_fma_f16 v41, v26, s4, v41
	v_fma_f16 v22, v26, s6, v22
	v_add_f16_e32 v8, v8, v18
	v_add_f16_e32 v35, v39, v40
	;; [unrolled: 1-line block ×3, first 2 shown]
	v_fma_f16 v40, v44, -0.5, v12
	v_fma_f16 v42, v37, s5, v34
	v_fma_f16 v41, v19, s0, v41
	;; [unrolled: 1-line block ×4, first 2 shown]
	v_add_f16_e32 v12, v16, v8
	s_waitcnt vmcnt(0)
	v_mul_f16_sdwa v8, v10, v27 dst_sel:DWORD dst_unused:UNUSED_PAD src0_sel:DWORD src1_sel:WORD_1
	v_mul_f16_sdwa v15, v6, v28 dst_sel:DWORD dst_unused:UNUSED_PAD src0_sel:DWORD src1_sel:WORD_1
	;; [unrolled: 1-line block ×4, first 2 shown]
	v_fma_f16 v42, v38, s6, v42
	v_fma_f16 v22, v38, s4, v22
	v_fma_f16 v8, v25, v27, -v8
	v_fma_f16 v15, v31, v28, -v15
	;; [unrolled: 1-line block ×4, first 2 shown]
	v_fma_f16 v42, v23, s0, v42
	v_fma_f16 v22, v23, s0, v22
	v_sub_f16_e32 v16, v8, v15
	v_sub_f16_e32 v20, v17, v18
	v_mul_f16_sdwa v21, v25, v27 dst_sel:DWORD dst_unused:UNUSED_PAD src0_sel:DWORD src1_sel:WORD_1
	v_mul_f16_sdwa v13, v13, v30 dst_sel:DWORD dst_unused:UNUSED_PAD src0_sel:DWORD src1_sel:WORD_1
	;; [unrolled: 1-line block ×3, first 2 shown]
	v_fma_f16 v43, v26, s5, v36
	v_fma_f16 v36, v26, s1, v36
	v_add_f16_e32 v16, v16, v20
	v_add_f16_e32 v20, v15, v18
	v_fma_f16 v10, v10, v27, v21
	v_fma_f16 v11, v11, v30, v13
	;; [unrolled: 1-line block ×3, first 2 shown]
	v_mul_f16_sdwa v6, v33, v29 dst_sel:DWORD dst_unused:UNUSED_PAD src0_sel:DWORD src1_sel:WORD_1
	v_fma_f16 v43, v24, s4, v43
	v_fma_f16 v36, v24, s6, v36
	s_waitcnt lgkmcnt(0)
	v_fma_f16 v20, v20, -0.5, v0
	v_sub_f16_e32 v13, v10, v11
	v_fma_f16 v24, v9, v29, v6
	v_sub_f16_e32 v29, v15, v8
	v_sub_f16_e32 v30, v18, v17
	v_fma_f16 v21, v13, s1, v20
	v_sub_f16_e32 v6, v23, v24
	v_add_f16_e32 v29, v29, v30
	v_add_f16_e32 v30, v8, v17
	v_fma_f16 v9, v6, s4, v21
	v_fma_f16 v30, v30, -0.5, v0
	v_fma_f16 v21, v16, s0, v9
	v_sub_f16_e32 v9, v10, v23
	v_sub_f16_e32 v25, v11, v24
	v_fma_f16 v31, v6, s5, v30
	v_sub_f16_e32 v32, v23, v10
	v_sub_f16_e32 v33, v24, v11
	v_fma_f16 v30, v6, s1, v30
	v_add_f16_e32 v9, v9, v25
	v_add_f16_e32 v25, v23, v24
	v_fma_f16 v31, v13, s4, v31
	v_add_f16_e32 v32, v32, v33
	v_add_f16_e32 v33, v10, v11
	v_fma_f16 v30, v13, s6, v30
	v_fma_f16 v13, v13, s5, v20
	v_fma_f16 v25, v25, -0.5, v5
	v_sub_f16_e32 v26, v8, v17
	v_sub_f16_e32 v28, v15, v18
	v_fma_f16 v33, v33, -0.5, v5
	v_fma_f16 v6, v6, s6, v13
	v_fma_f16 v43, v35, s0, v43
	;; [unrolled: 1-line block ×12, first 2 shown]
	s_mov_b32 s4, 0xba2e8ba3
	v_mul_hi_u32 v16, v7, s4
	v_fma_f16 v20, v9, s0, v6
	v_fma_f16 v44, v38, s1, v40
	;; [unrolled: 1-line block ×3, first 2 shown]
	v_lshrrev_b32_e32 v6, 8, v16
	v_fma_f16 v34, v28, s1, v33
	v_add_f16_e32 v0, v8, v0
	v_mul_u32_u24_e32 v6, 0x160, v6
	v_fma_f16 v44, v37, s6, v44
	v_fma_f16 v27, v28, s6, v27
	;; [unrolled: 1-line block ×3, first 2 shown]
	v_add_f16_e32 v0, v15, v0
	v_sub_u32_e32 v15, v7, v6
	v_fma_f16 v44, v39, s0, v44
	v_fma_f16 v36, v39, s0, v36
	;; [unrolled: 1-line block ×5, first 2 shown]
	v_mad_u64_u32 v[8:9], s[0:1], s2, v15, 0
	v_add_f16_e32 v0, v18, v0
	v_add_f16_e32 v16, v17, v0
	v_mov_b32_e32 v0, v9
	v_add_f16_e32 v10, v5, v10
	v_mad_u64_u32 v[5:6], s[0:1], s3, v15, v[0:1]
	v_add_f16_e32 v0, v10, v23
	v_add_f16_e32 v0, v0, v24
	;; [unrolled: 1-line block ×3, first 2 shown]
	v_mov_b32_e32 v9, v5
	v_mov_b32_e32 v0, s11
	v_add_co_u32_e32 v5, vcc, s10, v3
	v_add_u32_e32 v10, 0x160, v15
	v_addc_co_u32_e32 v4, vcc, v0, v4, vcc
	v_lshlrev_b64 v[0:1], 2, v[1:2]
	v_mad_u64_u32 v[2:3], s[0:1], s2, v10, 0
	v_add_co_u32_e32 v11, vcc, v5, v0
	v_addc_co_u32_e32 v17, vcc, v4, v1, vcc
	v_lshlrev_b64 v[0:1], 2, v[8:9]
	v_mad_u64_u32 v[3:4], s[0:1], s3, v10, v[3:4]
	v_add_co_u32_e32 v0, vcc, v11, v0
	v_addc_co_u32_e32 v1, vcc, v17, v1, vcc
	v_pack_b32_f16 v4, v6, v16
	global_store_dword v[0:1], v4, off
	v_add_u32_e32 v4, 0x2c0, v15
	v_lshlrev_b64 v[0:1], 2, v[2:3]
	v_mad_u64_u32 v[2:3], s[0:1], s2, v4, 0
	v_add_u32_e32 v8, 0x420, v15
	v_add_co_u32_e32 v0, vcc, v11, v0
	v_mad_u64_u32 v[3:4], s[0:1], s3, v4, v[3:4]
	v_mad_u64_u32 v[4:5], s[0:1], s2, v8, 0
	v_addc_co_u32_e32 v1, vcc, v17, v1, vcc
	v_pack_b32_f16 v6, v20, v13
	global_store_dword v[0:1], v6, off
	v_lshlrev_b64 v[0:1], 2, v[2:3]
	v_mov_b32_e32 v2, v5
	v_mad_u64_u32 v[2:3], s[0:1], s3, v8, v[2:3]
	v_add_co_u32_e32 v0, vcc, v11, v0
	v_addc_co_u32_e32 v1, vcc, v17, v1, vcc
	v_pack_b32_f16 v3, v30, v29
	v_mov_b32_e32 v5, v2
	global_store_dword v[0:1], v3, off
	v_lshlrev_b64 v[0:1], 2, v[4:5]
	v_add_u32_e32 v4, 0x580, v15
	v_mad_u64_u32 v[2:3], s[0:1], s2, v4, 0
	v_add_u32_e32 v5, 0xb0, v7
	v_mul_hi_u32 v7, v5, s4
	v_mad_u64_u32 v[3:4], s[0:1], s3, v4, v[3:4]
	s_movk_i32 s0, 0x6e0
	v_lshrrev_b32_e32 v4, 8, v7
	v_mul_u32_u24_e32 v7, 0x160, v4
	v_sub_u32_e32 v5, v5, v7
	v_mad_u32_u24 v7, v4, s0, v5
	v_mad_u64_u32 v[4:5], s[0:1], s2, v7, 0
	v_add_co_u32_e32 v0, vcc, v11, v0
	v_addc_co_u32_e32 v1, vcc, v17, v1, vcc
	v_pack_b32_f16 v6, v34, v31
	global_store_dword v[0:1], v6, off
	v_lshlrev_b64 v[0:1], 2, v[2:3]
	v_mov_b32_e32 v2, v5
	v_mad_u64_u32 v[2:3], s[0:1], s3, v7, v[2:3]
	v_add_co_u32_e32 v0, vcc, v11, v0
	v_addc_co_u32_e32 v1, vcc, v17, v1, vcc
	v_pack_b32_f16 v3, v27, v21
	v_mov_b32_e32 v5, v2
	global_store_dword v[0:1], v3, off
	v_lshlrev_b64 v[0:1], 2, v[4:5]
	v_add_u32_e32 v4, 0x160, v7
	v_mad_u64_u32 v[2:3], s[0:1], s2, v4, 0
	v_add_u32_e32 v8, 0x2c0, v7
	v_add_co_u32_e32 v0, vcc, v11, v0
	v_mad_u64_u32 v[3:4], s[0:1], s3, v4, v[3:4]
	v_mad_u64_u32 v[4:5], s[0:1], s2, v8, 0
	v_addc_co_u32_e32 v1, vcc, v17, v1, vcc
	v_pack_b32_f16 v6, v12, v14
	global_store_dword v[0:1], v6, off
	v_lshlrev_b64 v[0:1], 2, v[2:3]
	v_mov_b32_e32 v2, v5
	v_mad_u64_u32 v[2:3], s[0:1], s3, v8, v[2:3]
	v_add_co_u32_e32 v0, vcc, v11, v0
	v_addc_co_u32_e32 v1, vcc, v17, v1, vcc
	v_pack_b32_f16 v3, v22, v19
	v_mov_b32_e32 v5, v2
	global_store_dword v[0:1], v3, off
	v_lshlrev_b64 v[0:1], 2, v[4:5]
	v_add_u32_e32 v4, 0x420, v7
	v_mad_u64_u32 v[2:3], s[0:1], s2, v4, 0
	v_add_u32_e32 v7, 0x580, v7
	v_add_co_u32_e32 v0, vcc, v11, v0
	v_mad_u64_u32 v[3:4], s[0:1], s3, v4, v[3:4]
	v_mad_u64_u32 v[4:5], s[0:1], s2, v7, 0
	v_addc_co_u32_e32 v1, vcc, v17, v1, vcc
	v_pack_b32_f16 v6, v36, v35
	global_store_dword v[0:1], v6, off
	v_lshlrev_b64 v[0:1], 2, v[2:3]
	v_mov_b32_e32 v2, v5
	v_mad_u64_u32 v[2:3], s[0:1], s3, v7, v[2:3]
	v_add_co_u32_e32 v0, vcc, v11, v0
	v_addc_co_u32_e32 v1, vcc, v17, v1, vcc
	v_pack_b32_f16 v3, v44, v43
	v_mov_b32_e32 v5, v2
	global_store_dword v[0:1], v3, off
	v_lshlrev_b64 v[0:1], 2, v[4:5]
	v_pack_b32_f16 v2, v42, v41
	v_add_co_u32_e32 v0, vcc, v11, v0
	v_addc_co_u32_e32 v1, vcc, v17, v1, vcc
	global_store_dword v[0:1], v2, off
.LBB0_23:
	s_endpgm
	.section	.rodata,"a",@progbits
	.p2align	6, 0x0
	.amdhsa_kernel fft_rtc_back_len1760_factors_2_2_2_2_2_11_5_wgs_176_tpt_176_halfLds_half_op_CI_CI_sbrr_dirReg
		.amdhsa_group_segment_fixed_size 0
		.amdhsa_private_segment_fixed_size 0
		.amdhsa_kernarg_size 104
		.amdhsa_user_sgpr_count 6
		.amdhsa_user_sgpr_private_segment_buffer 1
		.amdhsa_user_sgpr_dispatch_ptr 0
		.amdhsa_user_sgpr_queue_ptr 0
		.amdhsa_user_sgpr_kernarg_segment_ptr 1
		.amdhsa_user_sgpr_dispatch_id 0
		.amdhsa_user_sgpr_flat_scratch_init 0
		.amdhsa_user_sgpr_private_segment_size 0
		.amdhsa_uses_dynamic_stack 0
		.amdhsa_system_sgpr_private_segment_wavefront_offset 0
		.amdhsa_system_sgpr_workgroup_id_x 1
		.amdhsa_system_sgpr_workgroup_id_y 0
		.amdhsa_system_sgpr_workgroup_id_z 0
		.amdhsa_system_sgpr_workgroup_info 0
		.amdhsa_system_vgpr_workitem_id 0
		.amdhsa_next_free_vgpr 61
		.amdhsa_next_free_sgpr 32
		.amdhsa_reserve_vcc 1
		.amdhsa_reserve_flat_scratch 0
		.amdhsa_float_round_mode_32 0
		.amdhsa_float_round_mode_16_64 0
		.amdhsa_float_denorm_mode_32 3
		.amdhsa_float_denorm_mode_16_64 3
		.amdhsa_dx10_clamp 1
		.amdhsa_ieee_mode 1
		.amdhsa_fp16_overflow 0
		.amdhsa_exception_fp_ieee_invalid_op 0
		.amdhsa_exception_fp_denorm_src 0
		.amdhsa_exception_fp_ieee_div_zero 0
		.amdhsa_exception_fp_ieee_overflow 0
		.amdhsa_exception_fp_ieee_underflow 0
		.amdhsa_exception_fp_ieee_inexact 0
		.amdhsa_exception_int_div_zero 0
	.end_amdhsa_kernel
	.text
.Lfunc_end0:
	.size	fft_rtc_back_len1760_factors_2_2_2_2_2_11_5_wgs_176_tpt_176_halfLds_half_op_CI_CI_sbrr_dirReg, .Lfunc_end0-fft_rtc_back_len1760_factors_2_2_2_2_2_11_5_wgs_176_tpt_176_halfLds_half_op_CI_CI_sbrr_dirReg
                                        ; -- End function
	.section	.AMDGPU.csdata,"",@progbits
; Kernel info:
; codeLenInByte = 10148
; NumSgprs: 36
; NumVgprs: 61
; ScratchSize: 0
; MemoryBound: 0
; FloatMode: 240
; IeeeMode: 1
; LDSByteSize: 0 bytes/workgroup (compile time only)
; SGPRBlocks: 4
; VGPRBlocks: 15
; NumSGPRsForWavesPerEU: 36
; NumVGPRsForWavesPerEU: 61
; Occupancy: 4
; WaveLimiterHint : 1
; COMPUTE_PGM_RSRC2:SCRATCH_EN: 0
; COMPUTE_PGM_RSRC2:USER_SGPR: 6
; COMPUTE_PGM_RSRC2:TRAP_HANDLER: 0
; COMPUTE_PGM_RSRC2:TGID_X_EN: 1
; COMPUTE_PGM_RSRC2:TGID_Y_EN: 0
; COMPUTE_PGM_RSRC2:TGID_Z_EN: 0
; COMPUTE_PGM_RSRC2:TIDIG_COMP_CNT: 0
	.type	__hip_cuid_5061ff40a8683251,@object ; @__hip_cuid_5061ff40a8683251
	.section	.bss,"aw",@nobits
	.globl	__hip_cuid_5061ff40a8683251
__hip_cuid_5061ff40a8683251:
	.byte	0                               ; 0x0
	.size	__hip_cuid_5061ff40a8683251, 1

	.ident	"AMD clang version 19.0.0git (https://github.com/RadeonOpenCompute/llvm-project roc-6.4.0 25133 c7fe45cf4b819c5991fe208aaa96edf142730f1d)"
	.section	".note.GNU-stack","",@progbits
	.addrsig
	.addrsig_sym __hip_cuid_5061ff40a8683251
	.amdgpu_metadata
---
amdhsa.kernels:
  - .args:
      - .actual_access:  read_only
        .address_space:  global
        .offset:         0
        .size:           8
        .value_kind:     global_buffer
      - .offset:         8
        .size:           8
        .value_kind:     by_value
      - .actual_access:  read_only
        .address_space:  global
        .offset:         16
        .size:           8
        .value_kind:     global_buffer
      - .actual_access:  read_only
        .address_space:  global
        .offset:         24
        .size:           8
        .value_kind:     global_buffer
      - .actual_access:  read_only
        .address_space:  global
        .offset:         32
        .size:           8
        .value_kind:     global_buffer
      - .offset:         40
        .size:           8
        .value_kind:     by_value
      - .actual_access:  read_only
        .address_space:  global
        .offset:         48
        .size:           8
        .value_kind:     global_buffer
      - .actual_access:  read_only
        .address_space:  global
        .offset:         56
        .size:           8
        .value_kind:     global_buffer
      - .offset:         64
        .size:           4
        .value_kind:     by_value
      - .actual_access:  read_only
        .address_space:  global
        .offset:         72
        .size:           8
        .value_kind:     global_buffer
      - .actual_access:  read_only
        .address_space:  global
        .offset:         80
        .size:           8
        .value_kind:     global_buffer
      - .actual_access:  read_only
        .address_space:  global
        .offset:         88
        .size:           8
        .value_kind:     global_buffer
      - .actual_access:  write_only
        .address_space:  global
        .offset:         96
        .size:           8
        .value_kind:     global_buffer
    .group_segment_fixed_size: 0
    .kernarg_segment_align: 8
    .kernarg_segment_size: 104
    .language:       OpenCL C
    .language_version:
      - 2
      - 0
    .max_flat_workgroup_size: 176
    .name:           fft_rtc_back_len1760_factors_2_2_2_2_2_11_5_wgs_176_tpt_176_halfLds_half_op_CI_CI_sbrr_dirReg
    .private_segment_fixed_size: 0
    .sgpr_count:     36
    .sgpr_spill_count: 0
    .symbol:         fft_rtc_back_len1760_factors_2_2_2_2_2_11_5_wgs_176_tpt_176_halfLds_half_op_CI_CI_sbrr_dirReg.kd
    .uniform_work_group_size: 1
    .uses_dynamic_stack: false
    .vgpr_count:     61
    .vgpr_spill_count: 0
    .wavefront_size: 64
amdhsa.target:   amdgcn-amd-amdhsa--gfx906
amdhsa.version:
  - 1
  - 2
...

	.end_amdgpu_metadata
